;; amdgpu-corpus repo=ROCm/rocFFT kind=compiled arch=gfx1030 opt=O3
	.text
	.amdgcn_target "amdgcn-amd-amdhsa--gfx1030"
	.amdhsa_code_object_version 6
	.protected	fft_rtc_back_len330_factors_11_10_3_wgs_99_tpt_33_half_op_CI_CI_unitstride_sbrr_R2C_dirReg ; -- Begin function fft_rtc_back_len330_factors_11_10_3_wgs_99_tpt_33_half_op_CI_CI_unitstride_sbrr_R2C_dirReg
	.globl	fft_rtc_back_len330_factors_11_10_3_wgs_99_tpt_33_half_op_CI_CI_unitstride_sbrr_R2C_dirReg
	.p2align	8
	.type	fft_rtc_back_len330_factors_11_10_3_wgs_99_tpt_33_half_op_CI_CI_unitstride_sbrr_R2C_dirReg,@function
fft_rtc_back_len330_factors_11_10_3_wgs_99_tpt_33_half_op_CI_CI_unitstride_sbrr_R2C_dirReg: ; @fft_rtc_back_len330_factors_11_10_3_wgs_99_tpt_33_half_op_CI_CI_unitstride_sbrr_R2C_dirReg
; %bb.0:
	s_load_dwordx4 s[12:15], s[4:5], 0x0
	v_mul_u32_u24_e32 v1, 0x7c2, v0
	s_clause 0x1
	s_load_dwordx4 s[8:11], s[4:5], 0x58
	s_load_dwordx4 s[16:19], s[4:5], 0x18
	v_mov_b32_e32 v10, 0
	v_mov_b32_e32 v6, 0
	;; [unrolled: 1-line block ×3, first 2 shown]
	v_lshrrev_b32_e32 v1, 16, v1
	v_mad_u64_u32 v[8:9], null, s6, 3, v[1:2]
	v_mov_b32_e32 v9, v10
	v_mov_b32_e32 v1, v6
	;; [unrolled: 1-line block ×4, first 2 shown]
	s_waitcnt lgkmcnt(0)
	v_cmp_lt_u64_e64 s0, s[14:15], 2
	v_mov_b32_e32 v4, v9
	s_and_b32 vcc_lo, exec_lo, s0
	s_cbranch_vccnz .LBB0_8
; %bb.1:
	s_load_dwordx2 s[0:1], s[4:5], 0x10
	v_mov_b32_e32 v6, 0
	v_mov_b32_e32 v7, 0
	s_add_u32 s2, s18, 8
	v_mov_b32_e32 v13, v9
	s_addc_u32 s3, s19, 0
	v_mov_b32_e32 v1, v6
	v_mov_b32_e32 v12, v8
	s_add_u32 s6, s16, 8
	v_mov_b32_e32 v2, v7
	s_addc_u32 s7, s17, 0
	s_mov_b64 s[22:23], 1
	s_waitcnt lgkmcnt(0)
	s_add_u32 s20, s0, 8
	s_addc_u32 s21, s1, 0
.LBB0_2:                                ; =>This Inner Loop Header: Depth=1
	s_load_dwordx2 s[24:25], s[20:21], 0x0
                                        ; implicit-def: $vgpr3_vgpr4
	s_mov_b32 s0, exec_lo
	s_waitcnt lgkmcnt(0)
	v_or_b32_e32 v11, s25, v13
	v_cmpx_ne_u64_e32 0, v[10:11]
	s_xor_b32 s1, exec_lo, s0
	s_cbranch_execz .LBB0_4
; %bb.3:                                ;   in Loop: Header=BB0_2 Depth=1
	v_cvt_f32_u32_e32 v3, s24
	v_cvt_f32_u32_e32 v4, s25
	s_sub_u32 s0, 0, s24
	s_subb_u32 s26, 0, s25
	v_fmac_f32_e32 v3, 0x4f800000, v4
	v_rcp_f32_e32 v3, v3
	v_mul_f32_e32 v3, 0x5f7ffffc, v3
	v_mul_f32_e32 v4, 0x2f800000, v3
	v_trunc_f32_e32 v4, v4
	v_fmac_f32_e32 v3, 0xcf800000, v4
	v_cvt_u32_f32_e32 v4, v4
	v_cvt_u32_f32_e32 v3, v3
	v_mul_lo_u32 v5, s0, v4
	v_mul_hi_u32 v9, s0, v3
	v_mul_lo_u32 v11, s26, v3
	v_add_nc_u32_e32 v5, v9, v5
	v_mul_lo_u32 v9, s0, v3
	v_add_nc_u32_e32 v5, v5, v11
	v_mul_hi_u32 v11, v3, v9
	v_mul_lo_u32 v14, v3, v5
	v_mul_hi_u32 v15, v3, v5
	v_mul_hi_u32 v16, v4, v9
	v_mul_lo_u32 v9, v4, v9
	v_mul_hi_u32 v17, v4, v5
	v_mul_lo_u32 v5, v4, v5
	v_add_co_u32 v11, vcc_lo, v11, v14
	v_add_co_ci_u32_e32 v14, vcc_lo, 0, v15, vcc_lo
	v_add_co_u32 v9, vcc_lo, v11, v9
	v_add_co_ci_u32_e32 v9, vcc_lo, v14, v16, vcc_lo
	v_add_co_ci_u32_e32 v11, vcc_lo, 0, v17, vcc_lo
	v_add_co_u32 v5, vcc_lo, v9, v5
	v_add_co_ci_u32_e32 v9, vcc_lo, 0, v11, vcc_lo
	v_add_co_u32 v3, vcc_lo, v3, v5
	v_add_co_ci_u32_e32 v4, vcc_lo, v4, v9, vcc_lo
	v_mul_hi_u32 v5, s0, v3
	v_mul_lo_u32 v11, s26, v3
	v_mul_lo_u32 v9, s0, v4
	v_add_nc_u32_e32 v5, v5, v9
	v_mul_lo_u32 v9, s0, v3
	v_add_nc_u32_e32 v5, v5, v11
	v_mul_hi_u32 v11, v3, v9
	v_mul_lo_u32 v14, v3, v5
	v_mul_hi_u32 v15, v3, v5
	v_mul_hi_u32 v16, v4, v9
	v_mul_lo_u32 v9, v4, v9
	v_mul_hi_u32 v17, v4, v5
	v_mul_lo_u32 v5, v4, v5
	v_add_co_u32 v11, vcc_lo, v11, v14
	v_add_co_ci_u32_e32 v14, vcc_lo, 0, v15, vcc_lo
	v_add_co_u32 v9, vcc_lo, v11, v9
	v_add_co_ci_u32_e32 v9, vcc_lo, v14, v16, vcc_lo
	v_add_co_ci_u32_e32 v11, vcc_lo, 0, v17, vcc_lo
	v_add_co_u32 v5, vcc_lo, v9, v5
	v_add_co_ci_u32_e32 v9, vcc_lo, 0, v11, vcc_lo
	v_add_co_u32 v5, vcc_lo, v3, v5
	v_add_co_ci_u32_e32 v9, vcc_lo, v4, v9, vcc_lo
	v_mul_hi_u32 v11, v12, v5
	v_mad_u64_u32 v[14:15], null, v13, v5, 0
	v_mad_u64_u32 v[3:4], null, v12, v9, 0
	;; [unrolled: 1-line block ×3, first 2 shown]
	v_add_co_u32 v3, vcc_lo, v11, v3
	v_add_co_ci_u32_e32 v4, vcc_lo, 0, v4, vcc_lo
	v_add_co_u32 v3, vcc_lo, v3, v14
	v_add_co_ci_u32_e32 v3, vcc_lo, v4, v15, vcc_lo
	v_add_co_ci_u32_e32 v4, vcc_lo, 0, v17, vcc_lo
	v_add_co_u32 v5, vcc_lo, v3, v16
	v_add_co_ci_u32_e32 v9, vcc_lo, 0, v4, vcc_lo
	v_mul_lo_u32 v11, s25, v5
	v_mad_u64_u32 v[3:4], null, s24, v5, 0
	v_mul_lo_u32 v14, s24, v9
	v_sub_co_u32 v3, vcc_lo, v12, v3
	v_add3_u32 v4, v4, v14, v11
	v_sub_nc_u32_e32 v11, v13, v4
	v_subrev_co_ci_u32_e64 v11, s0, s25, v11, vcc_lo
	v_add_co_u32 v14, s0, v5, 2
	v_add_co_ci_u32_e64 v15, s0, 0, v9, s0
	v_sub_co_u32 v16, s0, v3, s24
	v_sub_co_ci_u32_e32 v4, vcc_lo, v13, v4, vcc_lo
	v_subrev_co_ci_u32_e64 v11, s0, 0, v11, s0
	v_cmp_le_u32_e32 vcc_lo, s24, v16
	v_cmp_eq_u32_e64 s0, s25, v4
	v_cndmask_b32_e64 v16, 0, -1, vcc_lo
	v_cmp_le_u32_e32 vcc_lo, s25, v11
	v_cndmask_b32_e64 v17, 0, -1, vcc_lo
	v_cmp_le_u32_e32 vcc_lo, s24, v3
	;; [unrolled: 2-line block ×3, first 2 shown]
	v_cndmask_b32_e64 v18, 0, -1, vcc_lo
	v_cmp_eq_u32_e32 vcc_lo, s25, v11
	v_cndmask_b32_e64 v3, v18, v3, s0
	v_cndmask_b32_e32 v11, v17, v16, vcc_lo
	v_add_co_u32 v16, vcc_lo, v5, 1
	v_add_co_ci_u32_e32 v17, vcc_lo, 0, v9, vcc_lo
	v_cmp_ne_u32_e32 vcc_lo, 0, v11
	v_cndmask_b32_e32 v4, v17, v15, vcc_lo
	v_cndmask_b32_e32 v11, v16, v14, vcc_lo
	v_cmp_ne_u32_e32 vcc_lo, 0, v3
	v_cndmask_b32_e32 v4, v9, v4, vcc_lo
	v_cndmask_b32_e32 v3, v5, v11, vcc_lo
.LBB0_4:                                ;   in Loop: Header=BB0_2 Depth=1
	s_andn2_saveexec_b32 s0, s1
	s_cbranch_execz .LBB0_6
; %bb.5:                                ;   in Loop: Header=BB0_2 Depth=1
	v_cvt_f32_u32_e32 v3, s24
	s_sub_i32 s1, 0, s24
	v_rcp_iflag_f32_e32 v3, v3
	v_mul_f32_e32 v3, 0x4f7ffffe, v3
	v_cvt_u32_f32_e32 v3, v3
	v_mul_lo_u32 v4, s1, v3
	v_mul_hi_u32 v4, v3, v4
	v_add_nc_u32_e32 v3, v3, v4
	v_mul_hi_u32 v3, v12, v3
	v_mul_lo_u32 v4, v3, s24
	v_add_nc_u32_e32 v5, 1, v3
	v_sub_nc_u32_e32 v4, v12, v4
	v_subrev_nc_u32_e32 v9, s24, v4
	v_cmp_le_u32_e32 vcc_lo, s24, v4
	v_cndmask_b32_e32 v4, v4, v9, vcc_lo
	v_cndmask_b32_e32 v3, v3, v5, vcc_lo
	v_cmp_le_u32_e32 vcc_lo, s24, v4
	v_add_nc_u32_e32 v5, 1, v3
	v_mov_b32_e32 v4, v10
	v_cndmask_b32_e32 v3, v3, v5, vcc_lo
.LBB0_6:                                ;   in Loop: Header=BB0_2 Depth=1
	s_or_b32 exec_lo, exec_lo, s0
	v_mul_lo_u32 v5, v4, s24
	v_mul_lo_u32 v9, v3, s25
	s_load_dwordx2 s[0:1], s[6:7], 0x0
	v_mad_u64_u32 v[14:15], null, v3, s24, 0
	s_load_dwordx2 s[24:25], s[2:3], 0x0
	s_add_u32 s22, s22, 1
	s_addc_u32 s23, s23, 0
	s_add_u32 s2, s2, 8
	s_addc_u32 s3, s3, 0
	s_add_u32 s6, s6, 8
	v_add3_u32 v5, v15, v9, v5
	v_sub_co_u32 v9, vcc_lo, v12, v14
	s_addc_u32 s7, s7, 0
	s_add_u32 s20, s20, 8
	v_sub_co_ci_u32_e32 v5, vcc_lo, v13, v5, vcc_lo
	s_addc_u32 s21, s21, 0
	s_waitcnt lgkmcnt(0)
	v_mul_lo_u32 v11, s0, v5
	v_mul_lo_u32 v12, s1, v9
	v_mad_u64_u32 v[6:7], null, s0, v9, v[6:7]
	v_mul_lo_u32 v5, s24, v5
	v_mul_lo_u32 v13, s25, v9
	v_mad_u64_u32 v[1:2], null, s24, v9, v[1:2]
	v_cmp_ge_u64_e64 s0, s[22:23], s[14:15]
	v_add3_u32 v7, v12, v7, v11
	v_add3_u32 v2, v13, v2, v5
	s_and_b32 vcc_lo, exec_lo, s0
	s_cbranch_vccnz .LBB0_8
; %bb.7:                                ;   in Loop: Header=BB0_2 Depth=1
	v_mov_b32_e32 v13, v4
	v_mov_b32_e32 v12, v3
	s_branch .LBB0_2
.LBB0_8:
	s_load_dwordx2 s[0:1], s[4:5], 0x28
	v_mul_hi_u32 v5, 0xaaaaaaab, v8
	v_mul_hi_u32 v9, 0x7c1f07d, v0
	s_lshl_b64 s[4:5], s[14:15], 3
	s_add_u32 s2, s18, s4
	s_addc_u32 s3, s19, s5
	v_lshrrev_b32_e32 v5, 1, v5
	v_lshl_add_u32 v5, v5, 1, v5
	v_sub_nc_u32_e32 v8, v8, v5
	s_waitcnt lgkmcnt(0)
	v_cmp_gt_u64_e32 vcc_lo, s[0:1], v[3:4]
	v_cmp_le_u64_e64 s0, s[0:1], v[3:4]
                                        ; implicit-def: $vgpr5
	s_and_saveexec_b32 s1, s0
	s_xor_b32 s0, exec_lo, s1
; %bb.9:
	v_mul_u32_u24_e32 v5, 33, v9
                                        ; implicit-def: $vgpr9
                                        ; implicit-def: $vgpr6_vgpr7
	v_sub_nc_u32_e32 v5, v0, v5
                                        ; implicit-def: $vgpr0
; %bb.10:
	s_or_saveexec_b32 s1, s0
	v_mul_u32_u24_e32 v22, 0x14b, v8
	v_lshlrev_b32_e32 v24, 2, v22
	s_xor_b32 exec_lo, exec_lo, s1
	s_cbranch_execz .LBB0_12
; %bb.11:
	s_add_u32 s4, s16, s4
	s_addc_u32 s5, s17, s5
	v_lshlrev_b64 v[6:7], 2, v[6:7]
	s_load_dwordx2 s[4:5], s[4:5], 0x0
	s_waitcnt lgkmcnt(0)
	v_mul_lo_u32 v5, s5, v3
	v_mul_lo_u32 v8, s4, v4
	v_mad_u64_u32 v[10:11], null, s4, v3, 0
	v_add3_u32 v11, v11, v8, v5
	v_mul_u32_u24_e32 v5, 33, v9
	v_lshlrev_b64 v[8:9], 2, v[10:11]
	v_sub_nc_u32_e32 v5, v0, v5
	v_add_co_u32 v0, s0, s8, v8
	v_add_co_ci_u32_e64 v8, s0, s9, v9, s0
	v_lshlrev_b32_e32 v9, 2, v5
	v_add_co_u32 v0, s0, v0, v6
	v_add_co_ci_u32_e64 v7, s0, v8, v7, s0
	v_add_co_u32 v6, s0, v0, v9
	v_add_co_ci_u32_e64 v7, s0, 0, v7, s0
	s_clause 0x9
	global_load_dword v0, v[6:7], off
	global_load_dword v8, v[6:7], off offset:132
	global_load_dword v10, v[6:7], off offset:264
	;; [unrolled: 1-line block ×9, first 2 shown]
	v_add3_u32 v7, 0, v24, v9
	v_add_nc_u32_e32 v9, 0x400, v7
	s_waitcnt vmcnt(8)
	ds_write2_b32 v7, v0, v8 offset1:33
	s_waitcnt vmcnt(6)
	ds_write2_b32 v7, v10, v11 offset0:66 offset1:99
	s_waitcnt vmcnt(4)
	ds_write2_b32 v7, v12, v13 offset0:132 offset1:165
	;; [unrolled: 2-line block ×4, first 2 shown]
.LBB0_12:
	s_or_b32 exec_lo, exec_lo, s1
	v_lshlrev_b32_e32 v19, 2, v5
	s_waitcnt lgkmcnt(0)
	s_barrier
	buffer_gl0_inv
	s_mov_b32 s1, exec_lo
	v_add_nc_u32_e32 v23, 0, v19
	v_add_nc_u32_e32 v20, v23, v24
	;; [unrolled: 1-line block ×3, first 2 shown]
	ds_read2_b32 v[14:15], v20 offset0:90 offset1:120
	ds_read2_b32 v[10:11], v20 offset0:210 offset1:240
	;; [unrolled: 1-line block ×4, first 2 shown]
	v_add_nc_u32_e32 v0, 0, v24
	ds_read2_b32 v[12:13], v20 offset0:150 offset1:180
	v_add_nc_u32_e32 v18, v0, v19
	ds_read_b32 v6, v18
	s_waitcnt lgkmcnt(0)
	s_barrier
	buffer_gl0_inv
	v_pk_add_f16 v25, v14, v11 neg_lo:[0,1] neg_hi:[0,1]
	v_pk_add_f16 v32, v11, v14
	v_pk_add_f16 v29, v16, v9 neg_lo:[0,1] neg_hi:[0,1]
	v_pk_add_f16 v30, v17, v8 neg_lo:[0,1] neg_hi:[0,1]
	v_pk_add_f16 v34, v9, v16
	v_pk_add_f16 v33, v8, v17
	v_pk_add_f16 v26, v15, v10 neg_lo:[0,1] neg_hi:[0,1]
	v_pk_mul_f16 v7, 0xb853, v29 op_sel_hi:[0,1]
	v_pk_mul_f16 v21, 0xbb47, v30 op_sel_hi:[0,1]
	v_pk_add_f16 v31, v10, v15
	v_pk_add_f16 v27, v12, v13 neg_lo:[0,1] neg_hi:[0,1]
	v_pk_mul_f16 v40, 0xba0c, v26 op_sel_hi:[0,1]
	v_pk_fma_f16 v35, 0x3abb, v34, v7 op_sel:[0,0,1] op_sel_hi:[0,1,0] neg_lo:[0,0,1] neg_hi:[0,0,1]
	v_pk_fma_f16 v36, 0x3abb, v34, v7 op_sel:[0,0,1] op_sel_hi:[0,1,0]
	v_pk_mul_f16 v7, 0xbbeb, v25 op_sel_hi:[0,1]
	v_pk_fma_f16 v37, 0x36a6, v33, v21 op_sel:[0,0,1] op_sel_hi:[0,1,0] neg_lo:[0,0,1] neg_hi:[0,0,1]
	v_pk_fma_f16 v38, 0x36a6, v33, v21 op_sel:[0,0,1] op_sel_hi:[0,1,0]
	v_add_f16_e32 v21, v6, v35
	v_add_f16_sdwa v39, v6, v36 dst_sel:DWORD dst_unused:UNUSED_PAD src0_sel:WORD_1 src1_sel:WORD_1
	v_pk_fma_f16 v41, 0xb08e, v32, v7 op_sel:[0,0,1] op_sel_hi:[0,1,0] neg_lo:[0,0,1] neg_hi:[0,0,1]
	v_pk_fma_f16 v42, 0xb08e, v32, v7 op_sel:[0,0,1] op_sel_hi:[0,1,0]
	v_pk_add_f16 v28, v13, v12
	v_add_f16_e32 v7, v37, v21
	v_add_f16_sdwa v21, v38, v39 dst_sel:DWORD dst_unused:UNUSED_PAD src0_sel:WORD_1 src1_sel:DWORD
	v_pk_mul_f16 v45, 0xb482, v27 op_sel_hi:[0,1]
	v_pk_fma_f16 v43, 0xb93d, v31, v40 op_sel:[0,0,1] op_sel_hi:[0,1,0] neg_lo:[0,0,1] neg_hi:[0,0,1]
	v_pk_fma_f16 v44, 0xb93d, v31, v40 op_sel:[0,0,1] op_sel_hi:[0,1,0]
	v_add_f16_e32 v7, v41, v7
	v_add_f16_sdwa v21, v42, v21 dst_sel:DWORD dst_unused:UNUSED_PAD src0_sel:WORD_1 src1_sel:DWORD
	v_pk_fma_f16 v39, 0xbbad, v28, v45 op_sel:[0,0,1] op_sel_hi:[0,1,0] neg_lo:[0,0,1] neg_hi:[0,0,1]
	v_pk_fma_f16 v40, 0xbbad, v28, v45 op_sel:[0,0,1] op_sel_hi:[0,1,0]
	v_add_f16_e32 v7, v43, v7
	v_add_f16_sdwa v21, v44, v21 dst_sel:DWORD dst_unused:UNUSED_PAD src0_sel:WORD_1 src1_sel:DWORD
	v_add_f16_e32 v7, v39, v7
	v_add_f16_sdwa v21, v40, v21 dst_sel:DWORD dst_unused:UNUSED_PAD src0_sel:WORD_1 src1_sel:DWORD
	v_cmpx_gt_u32_e32 30, v5
	s_cbranch_execz .LBB0_14
; %bb.13:
	v_mov_b32_e32 v45, 0xb93d
	v_mov_b32_e32 v46, 0xb08e
	;; [unrolled: 1-line block ×5, first 2 shown]
	v_mul_f16_sdwa v50, v34, v45 dst_sel:DWORD dst_unused:UNUSED_PAD src0_sel:WORD_1 src1_sel:DWORD
	v_mul_f16_sdwa v54, v33, v46 dst_sel:DWORD dst_unused:UNUSED_PAD src0_sel:WORD_1 src1_sel:DWORD
	;; [unrolled: 1-line block ×3, first 2 shown]
	v_mov_b32_e32 v48, 0xbbad
	v_mov_b32_e32 v53, 0xb853
	v_fmamk_f16 v55, v29, 0x3a0c, v50
	v_mul_f16_sdwa v57, v32, v47 dst_sel:DWORD dst_unused:UNUSED_PAD src0_sel:WORD_1 src1_sel:DWORD
	v_fmamk_f16 v59, v30, 0xbbeb, v54
	v_mul_f16_sdwa v61, v30, v52 dst_sel:DWORD dst_unused:UNUSED_PAD src0_sel:WORD_1 src1_sel:DWORD
	v_fmamk_f16 v63, v34, 0xb93d, v58
	v_add_f16_sdwa v55, v6, v55 dst_sel:DWORD dst_unused:UNUSED_PAD src0_sel:WORD_1 src1_sel:DWORD
	v_mul_f16_sdwa v60, v31, v48 dst_sel:DWORD dst_unused:UNUSED_PAD src0_sel:WORD_1 src1_sel:DWORD
	v_fmamk_f16 v62, v25, 0x3853, v57
	v_fmamk_f16 v65, v33, 0xb08e, v61
	v_mul_f16_sdwa v66, v34, v46 dst_sel:DWORD dst_unused:UNUSED_PAD src0_sel:WORD_1 src1_sel:DWORD
	v_add_f16_e32 v55, v59, v55
	v_mul_f16_sdwa v59, v25, v53 dst_sel:DWORD dst_unused:UNUSED_PAD src0_sel:WORD_1 src1_sel:DWORD
	v_add_f16_e32 v63, v6, v63
	v_mov_b32_e32 v49, 0x36a6
	v_fmamk_f16 v64, v26, 0x3482, v60
	v_add_f16_e32 v55, v62, v55
	v_fmamk_f16 v67, v29, 0x3beb, v66
	v_mul_f16_sdwa v68, v33, v48 dst_sel:DWORD dst_unused:UNUSED_PAD src0_sel:WORD_1 src1_sel:DWORD
	v_fmamk_f16 v69, v32, 0x3abb, v59
	v_add_f16_e32 v63, v65, v63
	v_mov_b32_e32 v56, 0xb482
	v_mul_f16_sdwa v62, v28, v49 dst_sel:DWORD dst_unused:UNUSED_PAD src0_sel:WORD_1 src1_sel:DWORD
	v_add_f16_e32 v55, v64, v55
	v_add_f16_sdwa v64, v6, v67 dst_sel:DWORD dst_unused:UNUSED_PAD src0_sel:WORD_1 src1_sel:DWORD
	v_fmamk_f16 v65, v30, 0xb482, v68
	v_mul_f16_sdwa v67, v32, v49 dst_sel:DWORD dst_unused:UNUSED_PAD src0_sel:WORD_1 src1_sel:DWORD
	v_add_f16_e32 v63, v69, v63
	v_mov_b32_e32 v69, 0xbbeb
	v_bfi_b32 v35, 0xffff, v36, v35
	v_bfi_b32 v36, 0xffff, v38, v37
	;; [unrolled: 1-line block ×3, first 2 shown]
	v_fma_f16 v42, v34, 0xb93d, -v58
	v_mul_f16_sdwa v56, v26, v56 dst_sel:DWORD dst_unused:UNUSED_PAD src0_sel:WORD_1 src1_sel:DWORD
	v_fmamk_f16 v70, v27, 0xbb47, v62
	v_mov_b32_e32 v71, 0x3b47
	v_add_f16_e32 v64, v65, v64
	v_fmamk_f16 v65, v25, 0xbb47, v67
	v_mul_f16_sdwa v72, v31, v47 dst_sel:DWORD dst_unused:UNUSED_PAD src0_sel:WORD_1 src1_sel:DWORD
	v_mul_f16_sdwa v69, v29, v69 dst_sel:DWORD dst_unused:UNUSED_PAD src0_sel:WORD_1 src1_sel:DWORD
	v_mov_b32_e32 v74, 0x3482
	v_bfi_b32 v39, 0xffff, v40, v39
	v_add_f16_e32 v40, v6, v42
	v_fma_f16 v42, v33, 0xb08e, -v61
	v_fmamk_f16 v73, v31, 0xbbad, v56
	v_add_f16_e32 v55, v70, v55
	v_mul_f16_sdwa v70, v27, v71 dst_sel:DWORD dst_unused:UNUSED_PAD src0_sel:WORD_1 src1_sel:DWORD
	v_add_f16_e32 v64, v65, v64
	v_fmamk_f16 v65, v26, 0x3853, v72
	v_fmamk_f16 v76, v34, 0xb08e, v69
	v_mul_f16_sdwa v77, v30, v74 dst_sel:DWORD dst_unused:UNUSED_PAD src0_sel:WORD_1 src1_sel:DWORD
	v_add_f16_e32 v40, v42, v40
	v_fma_f16 v42, v32, 0x3abb, -v59
	v_add_f16_e32 v63, v73, v63
	v_fmamk_f16 v73, v28, 0x36a6, v70
	v_add_f16_e32 v64, v65, v64
	v_add_f16_e32 v65, v6, v76
	v_fmamk_f16 v76, v33, 0xbbad, v77
	v_mul_f16_sdwa v71, v25, v71 dst_sel:DWORD dst_unused:UNUSED_PAD src0_sel:WORD_1 src1_sel:DWORD
	v_fmac_f16_e32 v50, 0xba0c, v29
	v_bfi_b32 v41, 0xffff, v44, v43
	v_add_f16_e32 v40, v42, v40
	v_fma_f16 v42, v31, 0xbbad, -v56
	v_fma_f16 v44, v34, 0xb08e, -v69
	v_pk_add_f16 v16, v6, v16
	v_add_f16_e32 v63, v73, v63
	v_add_f16_e32 v65, v76, v65
	v_fmamk_f16 v73, v32, 0x36a6, v71
	v_mov_b32_e32 v76, 0xbb47
	v_add_f16_sdwa v38, v6, v50 dst_sel:DWORD dst_unused:UNUSED_PAD src0_sel:WORD_1 src1_sel:DWORD
	v_add_f16_e32 v40, v42, v40
	v_fma_f16 v42, v28, 0x36a6, -v70
	v_add_f16_e32 v44, v6, v44
	v_fma_f16 v50, v33, 0xbbad, -v77
	v_pk_add_f16 v16, v16, v17
	v_add_f16_e32 v65, v73, v65
	v_mul_f16_sdwa v73, v29, v76 dst_sel:DWORD dst_unused:UNUSED_PAD src0_sel:WORD_1 src1_sel:DWORD
	v_add_f16_e32 v40, v42, v40
	v_add_f16_e32 v42, v50, v44
	v_fma_f16 v44, v32, 0x36a6, -v71
	v_pk_add_f16 v14, v16, v14
	v_mul_f16_sdwa v82, v30, v51 dst_sel:DWORD dst_unused:UNUSED_PAD src0_sel:WORD_1 src1_sel:DWORD
	v_mul_f16_sdwa v74, v25, v74 dst_sel:DWORD dst_unused:UNUSED_PAD src0_sel:WORD_1 src1_sel:DWORD
	v_mul_f16_sdwa v49, v34, v49 dst_sel:DWORD dst_unused:UNUSED_PAD src0_sel:WORD_1 src1_sel:DWORD
	v_add_f16_e32 v42, v44, v42
	v_fma_f16 v44, v34, 0x36a6, -v73
	v_pk_add_f16 v14, v14, v15
	v_fma_f16 v15, v33, 0xb93d, -v82
	v_mul_f16_sdwa v52, v26, v52 dst_sel:DWORD dst_unused:UNUSED_PAD src0_sel:WORD_1 src1_sel:DWORD
	v_mul_f16_sdwa v75, v28, v45 dst_sel:DWORD dst_unused:UNUSED_PAD src0_sel:WORD_1 src1_sel:DWORD
	v_add_f16_e32 v44, v6, v44
	v_pk_add_f16 v12, v14, v12
	v_mul_f16_sdwa v53, v26, v53 dst_sel:DWORD dst_unused:UNUSED_PAD src0_sel:WORD_1 src1_sel:DWORD
	v_fmamk_f16 v79, v29, 0x3b47, v49
	v_mul_f16_sdwa v45, v33, v45 dst_sel:DWORD dst_unused:UNUSED_PAD src0_sel:WORD_1 src1_sel:DWORD
	v_add_f16_e32 v14, v15, v44
	v_fma_f16 v15, v32, 0xbbad, -v74
	v_pk_add_f16 v12, v12, v13
	v_fmamk_f16 v76, v31, 0x3abb, v53
	v_add_f16_sdwa v79, v6, v79 dst_sel:DWORD dst_unused:UNUSED_PAD src0_sel:WORD_1 src1_sel:DWORD
	v_fmamk_f16 v80, v30, 0x3a0c, v45
	v_add_f16_e32 v13, v15, v14
	v_fma_f16 v14, v31, 0xb08e, -v52
	v_pk_add_f16 v10, v12, v10
	v_pk_add_f16 v12, v6, v35
	v_mul_f16_sdwa v48, v32, v48 dst_sel:DWORD dst_unused:UNUSED_PAD src0_sel:WORD_1 src1_sel:DWORD
	v_fmamk_f16 v81, v34, 0x36a6, v73
	v_fmac_f16_e32 v49, 0xbb47, v29
	v_add_f16_e32 v13, v14, v13
	v_pk_mul_f16 v14, 0xbbad, v34 op_sel_hi:[0,1]
	v_pk_add_f16 v10, v10, v11
	v_pk_add_f16 v11, v36, v12
	v_add_f16_e32 v65, v76, v65
	v_add_f16_e32 v76, v80, v79
	v_fmamk_f16 v79, v25, 0xb482, v48
	v_add_f16_e32 v80, v6, v81
	v_fmamk_f16 v81, v33, 0xb93d, v82
	v_add_f16_sdwa v17, v6, v49 dst_sel:DWORD dst_unused:UNUSED_PAD src0_sel:WORD_1 src1_sel:DWORD
	v_fmac_f16_e32 v45, 0xba0c, v30
	v_pk_fma_f16 v34, 0xb482, v29, v14 op_sel:[0,0,1] op_sel_hi:[0,1,0]
	v_pk_add_f16 v8, v10, v8
	v_pk_add_f16 v10, v37, v11
	v_pk_mul_f16 v11, 0x3abb, v33 op_sel_hi:[0,1]
	v_add_f16_e32 v76, v79, v76
	v_mul_f16_sdwa v46, v31, v46 dst_sel:DWORD dst_unused:UNUSED_PAD src0_sel:WORD_1 src1_sel:DWORD
	v_add_f16_e32 v79, v81, v80
	v_fmamk_f16 v80, v32, 0xbbad, v74
	v_mov_b32_e32 v81, 0x3853
	v_fmac_f16_e32 v66, 0xbbeb, v29
	v_add_f16_e32 v17, v45, v17
	v_fmac_f16_e32 v48, 0x3482, v25
	v_alignbit_b32 v33, s0, v34, 16
	v_pk_add_f16 v8, v8, v9
	v_pk_add_f16 v9, v41, v10
	v_pk_fma_f16 v10, 0x3853, v30, v11 op_sel:[0,0,1] op_sel_hi:[0,1,0]
	v_pk_mul_f16 v32, 0xb93d, v32 op_sel_hi:[0,1]
	v_alignbit_b32 v35, s0, v6, 16
	v_pk_fma_f16 v14, 0xb482, v29, v14 op_sel:[0,0,1] op_sel_hi:[0,1,0] neg_lo:[0,1,0] neg_hi:[0,1,0]
	v_mul_f16_sdwa v51, v27, v51 dst_sel:DWORD dst_unused:UNUSED_PAD src0_sel:WORD_1 src1_sel:DWORD
	v_fmamk_f16 v83, v26, 0xbbeb, v46
	v_mul_f16_sdwa v47, v28, v47 dst_sel:DWORD dst_unused:UNUSED_PAD src0_sel:WORD_1 src1_sel:DWORD
	v_add_f16_e32 v79, v80, v79
	v_fmamk_f16 v80, v31, 0xb08e, v52
	v_mul_f16_sdwa v81, v27, v81 dst_sel:DWORD dst_unused:UNUSED_PAD src0_sel:WORD_1 src1_sel:DWORD
	v_add_f16_sdwa v43, v6, v66 dst_sel:DWORD dst_unused:UNUSED_PAD src0_sel:WORD_1 src1_sel:DWORD
	v_fma_f16 v16, v31, 0x3abb, -v53
	v_add_f16_e32 v17, v48, v17
	v_fmac_f16_e32 v46, 0x3beb, v26
	v_pk_add_f16 v33, v6, v33
	v_alignbit_b32 v29, s0, v10, 16
	v_pk_fma_f16 v36, 0xba0c, v25, v32 op_sel:[0,0,1] op_sel_hi:[0,1,0]
	v_pk_mul_f16 v31, 0x36a6, v31 op_sel_hi:[0,1]
	v_pk_add_f16 v34, v35, v34
	v_pk_add_f16 v6, v6, v14 op_sel:[1,0] op_sel_hi:[0,1]
	v_pk_fma_f16 v11, 0x3853, v30, v11 op_sel:[0,0,1] op_sel_hi:[0,1,0] neg_lo:[0,1,0] neg_hi:[0,1,0]
	v_fmac_f16_e32 v54, 0x3beb, v30
	v_fmac_f16_e32 v68, 0x3482, v30
	v_fmamk_f16 v84, v28, 0xb93d, v51
	v_add_f16_e32 v76, v83, v76
	v_fmamk_f16 v83, v27, 0xb853, v47
	v_add_f16_e32 v79, v80, v79
	;; [unrolled: 2-line block ×3, first 2 shown]
	v_fma_f16 v42, v28, 0xb93d, -v51
	v_add_f16_e32 v17, v46, v17
	v_fmac_f16_e32 v47, 0x3853, v27
	v_fma_f16 v12, v28, 0x3abb, -v81
	v_pk_add_f16 v14, v29, v33
	v_alignbit_b32 v29, s0, v36, 16
	v_pk_fma_f16 v30, 0x3b47, v26, v31 op_sel:[0,0,1] op_sel_hi:[0,1,0]
	v_pk_add_f16 v10, v10, v34
	v_pk_add_f16 v6, v11, v6
	v_pk_fma_f16 v11, 0xba0c, v25, v32 op_sel:[0,0,1] op_sel_hi:[0,1,0] neg_lo:[0,1,0] neg_hi:[0,1,0]
	v_pk_mul_f16 v28, 0xb08e, v28 op_sel_hi:[0,1]
	v_add_f16_e32 v38, v54, v38
	v_fmac_f16_e32 v57, 0xb853, v25
	v_add_f16_e32 v43, v68, v43
	v_fmac_f16_e32 v67, 0x3b47, v25
	v_fmac_f16_e32 v60, 0xb482, v26
	;; [unrolled: 1-line block ×3, first 2 shown]
	v_add_f16_e32 v15, v42, v16
	v_add_f16_e32 v16, v47, v17
	v_mul_u32_u24_e32 v17, 40, v5
	v_pk_add_f16 v14, v29, v14
	v_alignbit_b32 v25, s0, v30, 16
	v_pk_add_f16 v10, v36, v10
	v_pk_add_f16 v6, v11, v6
	v_pk_fma_f16 v11, 0x3b47, v26, v31 op_sel:[0,0,1] op_sel_hi:[0,1,0] neg_lo:[0,1,0] neg_hi:[0,1,0]
	v_pk_fma_f16 v26, 0xbbeb, v27, v28 op_sel:[0,0,1] op_sel_hi:[0,1,0]
	v_add_f16_e32 v38, v57, v38
	v_add_f16_e32 v43, v67, v43
	v_fmamk_f16 v78, v27, 0x3a0c, v75
	v_add3_u32 v17, v23, v17, v24
	v_pk_add_f16 v9, v39, v9
	v_pk_add_f16 v14, v25, v14
	;; [unrolled: 1-line block ×4, first 2 shown]
	v_pk_fma_f16 v11, 0xbbeb, v27, v28 op_sel:[0,0,1] op_sel_hi:[0,1,0] neg_lo:[0,1,0] neg_hi:[0,1,0]
	v_alignbit_b32 v25, s0, v26, 16
	v_add_f16_e32 v38, v60, v38
	v_fmac_f16_e32 v62, 0x3b47, v27
	v_add_f16_e32 v43, v72, v43
	v_fmac_f16_e32 v75, 0xba0c, v27
	v_add_f16_e32 v64, v78, v64
	v_add_f16_e32 v65, v84, v65
	;; [unrolled: 1-line block ×4, first 2 shown]
	ds_write2_b32 v17, v8, v9 offset1:1
	v_pk_add_f16 v8, v26, v10
	v_pk_add_f16 v6, v11, v6
	;; [unrolled: 1-line block ×3, first 2 shown]
	v_add_f16_e32 v38, v62, v38
	v_add_f16_e32 v43, v75, v43
	;; [unrolled: 1-line block ×3, first 2 shown]
	v_pack_b32_f16 v10, v65, v64
	v_pack_b32_f16 v11, v78, v76
	;; [unrolled: 1-line block ×3, first 2 shown]
	v_alignbit_b32 v8, v8, v6, 16
	v_pack_b32_f16 v6, v9, v6
	v_pack_b32_f16 v9, v15, v43
	;; [unrolled: 1-line block ×4, first 2 shown]
	v_perm_b32 v15, v21, v7, 0x5040100
	ds_write2_b32 v17, v11, v10 offset0:2 offset1:3
	ds_write_b32 v17, v13 offset:16
	ds_write2_b32 v17, v6, v8 offset0:5 offset1:6
	ds_write2_b32 v17, v14, v9 offset0:7 offset1:8
	;; [unrolled: 1-line block ×3, first 2 shown]
.LBB0_14:
	s_or_b32 exec_lo, exec_lo, s1
	v_and_b32_e32 v6, 0xff, v5
	v_mov_b32_e32 v9, 9
	s_load_dwordx2 s[2:3], s[2:3], 0x0
	s_waitcnt lgkmcnt(0)
	s_barrier
	v_mul_lo_u16 v6, 0x75, v6
	buffer_gl0_inv
	v_add_nc_u32_e32 v35, 0x200, v20
	v_mov_b32_e32 v36, 2
	v_cmp_gt_u32_e64 s0, 11, v5
	v_lshrrev_b16 v6, 8, v6
	v_sub_nc_u16 v8, v5, v6
	v_lshrrev_b16 v8, 1, v8
	v_and_b32_e32 v8, 0x7f, v8
	v_add_nc_u16 v6, v8, v6
	v_lshrrev_b16 v6, 3, v6
	v_mul_lo_u16 v8, v6, 11
	v_and_b32_e32 v6, 0xffff, v6
	v_sub_nc_u16 v31, v5, v8
	v_mad_u32_u24 v6, 0x1b8, v6, 0
	v_mul_u32_u24_sdwa v8, v31, v9 dst_sel:DWORD dst_unused:UNUSED_PAD src0_sel:BYTE_0 src1_sel:DWORD
	v_lshlrev_b32_sdwa v31, v36, v31 dst_sel:DWORD dst_unused:UNUSED_PAD src0_sel:DWORD src1_sel:BYTE_0
	v_lshlrev_b32_e32 v16, 2, v8
	v_add3_u32 v31, v6, v31, v24
	s_clause 0x2
	global_load_dwordx4 v[8:11], v16, s[12:13]
	global_load_dwordx4 v[12:15], v16, s[12:13] offset:16
	global_load_dword v32, v16, s[12:13] offset:32
	ds_read_b32 v33, v18
	ds_read2_b32 v[16:17], v20 offset0:165 offset1:198
	ds_read_b32 v34, v20 offset:1188
	ds_read2_b32 v[25:26], v20 offset0:33 offset1:66
	ds_read2_b32 v[27:28], v20 offset0:99 offset1:132
	;; [unrolled: 1-line block ×3, first 2 shown]
	s_waitcnt vmcnt(0) lgkmcnt(0)
	s_barrier
	buffer_gl0_inv
	v_lshrrev_b32_e32 v37, 16, v33
	v_lshrrev_b32_e32 v38, 16, v17
	;; [unrolled: 1-line block ×10, first 2 shown]
	v_mul_f16_sdwa v6, v8, v40 dst_sel:DWORD dst_unused:UNUSED_PAD src0_sel:WORD_1 src1_sel:DWORD
	v_mul_f16_sdwa v24, v8, v25 dst_sel:DWORD dst_unused:UNUSED_PAD src0_sel:WORD_1 src1_sel:DWORD
	;; [unrolled: 1-line block ×10, first 2 shown]
	v_mul_f16_sdwa v54, v38, v13 dst_sel:DWORD dst_unused:UNUSED_PAD src0_sel:DWORD src1_sel:WORD_1
	v_mul_f16_sdwa v55, v17, v13 dst_sel:DWORD dst_unused:UNUSED_PAD src0_sel:DWORD src1_sel:WORD_1
	;; [unrolled: 1-line block ×8, first 2 shown]
	v_fmac_f16_e32 v6, v8, v25
	v_fma_f16 v8, v8, v40, -v24
	v_fmac_f16_e32 v46, v9, v26
	v_fma_f16 v9, v9, v41, -v47
	;; [unrolled: 2-line block ×8, first 2 shown]
	v_fma_f16 v16, v39, v32, -v61
	v_fmac_f16_e32 v60, v34, v32
	v_sub_f16_e32 v27, v46, v50
	v_sub_f16_e32 v28, v58, v54
	;; [unrolled: 1-line block ×6, first 2 shown]
	v_add_f16_e32 v59, v8, v10
	v_add_f16_e32 v61, v12, v14
	;; [unrolled: 1-line block ×6, first 2 shown]
	v_sub_f16_e32 v38, v46, v58
	v_add_f16_e32 v44, v6, v48
	v_add_f16_e32 v45, v52, v56
	v_sub_f16_e32 v46, v10, v16
	v_sub_f16_e32 v47, v12, v14
	;; [unrolled: 1-line block ×3, first 2 shown]
	v_add_f16_e32 v53, v48, v60
	v_sub_f16_e32 v55, v52, v48
	v_sub_f16_e32 v48, v48, v60
	;; [unrolled: 1-line block ×4, first 2 shown]
	v_add_f16_e32 v27, v27, v28
	v_add_f16_e32 v28, v30, v32
	;; [unrolled: 1-line block ×4, first 2 shown]
	v_fma_f16 v41, -0.5, v61, v8
	v_add_f16_e32 v24, v50, v54
	v_add_f16_e32 v36, v11, v13
	;; [unrolled: 1-line block ×3, first 2 shown]
	v_sub_f16_e32 v51, v60, v56
	v_sub_f16_e32 v62, v52, v56
	v_fmac_f16_e32 v8, -0.5, v65
	v_sub_f16_e32 v25, v9, v15
	v_sub_f16_e32 v26, v11, v13
	;; [unrolled: 1-line block ×5, first 2 shown]
	v_add_f16_e32 v11, v34, v11
	v_fma_f16 v34, -0.5, v45, v6
	v_add_f16_e32 v12, v12, v14
	v_fmamk_f16 v14, v48, 0x3b9c, v41
	v_sub_f16_e32 v39, v50, v54
	v_add_f16_e32 v17, v17, v50
	v_fma_f16 v24, -0.5, v24, v33
	v_fmac_f16_e32 v33, -0.5, v29
	v_fma_f16 v29, -0.5, v36, v37
	v_fmac_f16_e32 v37, -0.5, v42
	v_add_f16_e32 v32, v44, v52
	v_add_f16_e32 v36, v49, v51
	v_fmac_f16_e32 v6, -0.5, v53
	v_fmamk_f16 v51, v62, 0xbb9c, v8
	v_fmac_f16_e32 v8, 0x3b9c, v62
	v_sub_f16_e32 v43, v13, v15
	v_fmac_f16_e32 v41, 0xbb9c, v48
	v_add_f16_e32 v42, v63, v64
	v_add_f16_e32 v11, v11, v13
	v_fmamk_f16 v49, v46, 0xbb9c, v34
	v_fmac_f16_e32 v14, 0x38b4, v62
	v_sub_f16_e32 v57, v56, v60
	v_add_f16_e32 v10, v10, v66
	v_add_f16_e32 v17, v17, v54
	v_fmamk_f16 v45, v39, 0xbb9c, v37
	v_fmac_f16_e32 v37, 0x3b9c, v39
	v_add_f16_e32 v32, v32, v56
	v_fmamk_f16 v50, v47, 0x3b9c, v6
	v_fmac_f16_e32 v6, 0xbb9c, v47
	v_fmac_f16_e32 v51, 0x38b4, v48
	;; [unrolled: 1-line block ×3, first 2 shown]
	v_add_f16_e32 v9, v9, v43
	v_fmamk_f16 v43, v25, 0xbb9c, v24
	v_fmac_f16_e32 v24, 0x3b9c, v25
	v_fmac_f16_e32 v34, 0x3b9c, v46
	;; [unrolled: 1-line block ×3, first 2 shown]
	v_fmamk_f16 v13, v38, 0x3b9c, v29
	v_add_f16_e32 v11, v11, v15
	v_fmac_f16_e32 v49, 0xb8b4, v47
	v_add_f16_e32 v12, v12, v16
	v_fmac_f16_e32 v14, 0x34f2, v42
	v_add_f16_e32 v40, v55, v57
	v_fmamk_f16 v44, v26, 0x3b9c, v33
	v_fmac_f16_e32 v33, 0xbb9c, v26
	v_add_f16_e32 v17, v17, v58
	v_fmac_f16_e32 v45, 0x38b4, v38
	v_fmac_f16_e32 v37, 0xb8b4, v38
	v_add_f16_e32 v15, v32, v60
	v_fmac_f16_e32 v50, 0xb8b4, v46
	v_fmac_f16_e32 v6, 0x38b4, v46
	;; [unrolled: 1-line block ×11, first 2 shown]
	v_add_f16_e32 v10, v11, v12
	v_sub_f16_e32 v11, v11, v12
	v_mul_f16_e32 v12, 0xb8b4, v14
	v_mul_f16_e32 v14, 0x3a79, v14
	v_fmac_f16_e32 v44, 0xb8b4, v25
	v_fmac_f16_e32 v33, 0x38b4, v25
	;; [unrolled: 1-line block ×6, first 2 shown]
	v_add_f16_e32 v9, v17, v15
	v_sub_f16_e32 v15, v17, v15
	v_mul_f16_e32 v16, 0xbb9c, v51
	v_mul_f16_e32 v17, 0xbb9c, v8
	;; [unrolled: 1-line block ×4, first 2 shown]
	v_fmac_f16_e32 v29, 0xb8b4, v39
	v_fmac_f16_e32 v43, 0x34f2, v27
	;; [unrolled: 1-line block ×4, first 2 shown]
	v_mul_f16_e32 v25, 0xb8b4, v41
	v_mul_f16_e32 v27, 0xba79, v41
	v_fmac_f16_e32 v13, 0x34f2, v30
	v_fmac_f16_e32 v12, 0x3a79, v49
	;; [unrolled: 1-line block ×12, first 2 shown]
	v_pack_b32_f16 v9, v9, v10
	v_pack_b32_f16 v10, v15, v11
	v_add_f16_e32 v11, v43, v12
	v_add_f16_e32 v32, v13, v14
	;; [unrolled: 1-line block ×8, first 2 shown]
	v_sub_f16_e32 v12, v43, v12
	v_sub_f16_e32 v16, v44, v16
	;; [unrolled: 1-line block ×8, first 2 shown]
	v_pack_b32_f16 v11, v11, v32
	v_pack_b32_f16 v15, v15, v34
	v_pack_b32_f16 v25, v28, v36
	v_pack_b32_f16 v26, v30, v38
	v_pack_b32_f16 v12, v12, v13
	v_pack_b32_f16 v13, v16, v14
	v_pack_b32_f16 v8, v17, v8
	v_pack_b32_f16 v14, v6, v24
	ds_write2_b32 v31, v9, v11 offset1:11
	ds_write2_b32 v31, v15, v25 offset0:22 offset1:33
	ds_write2_b32 v31, v26, v10 offset0:44 offset1:55
	;; [unrolled: 1-line block ×4, first 2 shown]
	s_waitcnt lgkmcnt(0)
	s_barrier
	buffer_gl0_inv
	ds_read_b32 v27, v18
	ds_read2_b32 v[14:15], v20 offset0:110 offset1:143
	ds_read2_b32 v[12:13], v20 offset0:176 offset1:220
	;; [unrolled: 1-line block ×4, first 2 shown]
                                        ; implicit-def: $vgpr26
                                        ; implicit-def: $vgpr25
	s_and_saveexec_b32 s1, s0
	s_cbranch_execz .LBB0_16
; %bb.15:
	ds_read2_b32 v[6:7], v20 offset0:99 offset1:209
	ds_read_b32 v25, v20 offset:1276
	s_waitcnt lgkmcnt(1)
	v_lshrrev_b32_e32 v24, 16, v6
	s_waitcnt lgkmcnt(0)
	v_lshrrev_b32_e32 v26, 16, v25
	v_lshrrev_b32_e32 v21, 16, v7
.LBB0_16:
	s_or_b32 exec_lo, exec_lo, s1
	v_lshlrev_b32_e32 v10, 1, v5
	v_mov_b32_e32 v11, 0
	s_waitcnt lgkmcnt(3)
	v_lshrrev_b32_e32 v39, 16, v14
	s_waitcnt lgkmcnt(2)
	v_lshrrev_b32_e32 v40, 16, v13
	;; [unrolled: 2-line block ×3, first 2 shown]
	v_add_nc_u32_e32 v30, 0x42, v10
	v_mov_b32_e32 v31, v11
	v_lshlrev_b64 v[28:29], 2, v[10:11]
	v_add_nc_u32_e32 v10, 0x84, v10
	v_lshrrev_b32_e32 v36, 16, v12
	v_lshrrev_b32_e32 v37, 16, v16
	v_lshlrev_b64 v[30:31], 2, v[30:31]
	v_lshrrev_b32_e32 v38, 16, v15
	v_add_co_u32 v28, s1, s12, v28
	v_lshlrev_b64 v[32:33], 2, v[10:11]
	v_add_co_ci_u32_e64 v29, s1, s13, v29, s1
	v_add_co_u32 v30, s1, s12, v30
	v_add_co_ci_u32_e64 v31, s1, s13, v31, s1
	v_add_co_u32 v32, s1, s12, v32
	global_load_dwordx2 v[28:29], v[28:29], off offset:396
	v_add_co_ci_u32_e64 v33, s1, s13, v33, s1
	s_clause 0x1
	global_load_dwordx2 v[30:31], v[30:31], off offset:396
	global_load_dwordx2 v[32:33], v[32:33], off offset:396
	v_lshl_add_u32 v10, v22, 2, v23
	v_lshrrev_b32_e32 v22, 16, v27
	v_lshrrev_b32_e32 v23, 16, v8
	;; [unrolled: 1-line block ×3, first 2 shown]
	s_waitcnt vmcnt(0)
	v_add_nc_u32_e32 v41, 0x200, v10
	s_barrier
	buffer_gl0_inv
	v_mul_f16_sdwa v42, v28, v39 dst_sel:DWORD dst_unused:UNUSED_PAD src0_sel:WORD_1 src1_sel:DWORD
	v_mul_f16_sdwa v43, v28, v14 dst_sel:DWORD dst_unused:UNUSED_PAD src0_sel:WORD_1 src1_sel:DWORD
	v_mul_f16_sdwa v44, v29, v40 dst_sel:DWORD dst_unused:UNUSED_PAD src0_sel:WORD_1 src1_sel:DWORD
	v_mul_f16_sdwa v45, v29, v13 dst_sel:DWORD dst_unused:UNUSED_PAD src0_sel:WORD_1 src1_sel:DWORD
	v_fmac_f16_e32 v42, v28, v14
	v_fma_f16 v14, v28, v39, -v43
	v_fmac_f16_e32 v44, v29, v13
	v_fma_f16 v13, v29, v40, -v45
	v_mul_f16_sdwa v28, v30, v38 dst_sel:DWORD dst_unused:UNUSED_PAD src0_sel:WORD_1 src1_sel:DWORD
	v_mul_f16_sdwa v29, v30, v15 dst_sel:DWORD dst_unused:UNUSED_PAD src0_sel:WORD_1 src1_sel:DWORD
	;; [unrolled: 1-line block ×8, first 2 shown]
	v_fmac_f16_e32 v28, v30, v15
	v_fma_f16 v15, v30, v38, -v29
	v_fmac_f16_e32 v39, v31, v16
	v_fma_f16 v16, v31, v37, -v40
	;; [unrolled: 2-line block ×4, first 2 shown]
	v_add_f16_e32 v30, v42, v44
	v_add_f16_e32 v32, v22, v14
	v_sub_f16_e32 v31, v14, v13
	v_add_f16_e32 v14, v14, v13
	v_add_f16_e32 v29, v27, v42
	v_fmac_f16_e32 v27, -0.5, v30
	v_add_f16_e32 v13, v32, v13
	v_add_f16_e32 v30, v28, v39
	v_sub_f16_e32 v32, v15, v16
	v_add_f16_e32 v35, v23, v15
	v_add_f16_e32 v15, v15, v16
	;; [unrolled: 1-line block ×3, first 2 shown]
	v_sub_f16_e32 v38, v12, v17
	v_add_f16_e32 v40, v34, v12
	v_add_f16_e32 v12, v12, v17
	v_sub_f16_e32 v33, v42, v44
	v_fmac_f16_e32 v22, -0.5, v14
	v_add_f16_e32 v14, v8, v28
	v_add_f16_e32 v36, v9, v43
	;; [unrolled: 1-line block ×3, first 2 shown]
	v_sub_f16_e32 v28, v28, v39
	v_sub_f16_e32 v42, v43, v46
	v_fma_f16 v8, -0.5, v30, v8
	v_fmac_f16_e32 v23, -0.5, v15
	v_fmac_f16_e32 v9, -0.5, v37
	v_fmac_f16_e32 v34, -0.5, v12
	v_fmamk_f16 v43, v31, 0xbaee, v27
	v_fmac_f16_e32 v27, 0x3aee, v31
	v_fmamk_f16 v31, v33, 0x3aee, v22
	v_fmac_f16_e32 v22, 0xbaee, v33
	v_add_f16_e32 v14, v14, v39
	v_add_f16_e32 v16, v35, v16
	;; [unrolled: 1-line block ×4, first 2 shown]
	v_pack_b32_f16 v12, v29, v13
	v_fmamk_f16 v13, v32, 0xbaee, v8
	v_fmamk_f16 v29, v28, 0x3aee, v23
	v_fmac_f16_e32 v23, 0xbaee, v28
	v_fmamk_f16 v28, v38, 0xbaee, v9
	v_fmamk_f16 v30, v42, 0x3aee, v34
	v_fmac_f16_e32 v8, 0x3aee, v32
	v_fmac_f16_e32 v9, 0x3aee, v38
	;; [unrolled: 1-line block ×3, first 2 shown]
	v_pack_b32_f16 v22, v27, v22
	v_pack_b32_f16 v14, v14, v16
	v_pack_b32_f16 v31, v43, v31
	v_pack_b32_f16 v15, v15, v17
	v_pack_b32_f16 v13, v13, v29
	v_pack_b32_f16 v16, v28, v30
	v_pack_b32_f16 v8, v8, v23
	v_pack_b32_f16 v9, v9, v34
	ds_write_b32 v20, v22 offset:880
	ds_write2_b32 v20, v12, v14 offset1:33
	ds_write2_b32 v20, v15, v31 offset0:66 offset1:110
	ds_write2_b32 v10, v13, v16 offset0:143 offset1:176
	;; [unrolled: 1-line block ×3, first 2 shown]
	s_and_saveexec_b32 s1, s0
	s_cbranch_execz .LBB0_18
; %bb.17:
	v_cndmask_b32_e64 v8, -11, 0x63, s0
	v_add_lshl_u32 v10, v5, v8, 1
	v_lshlrev_b64 v[8:9], 2, v[10:11]
	v_add_co_u32 v8, s0, s12, v8
	v_add_co_ci_u32_e64 v9, s0, s13, v9, s0
	global_load_dwordx2 v[8:9], v[8:9], off offset:396
	s_waitcnt vmcnt(0)
	v_mul_f16_sdwa v10, v7, v8 dst_sel:DWORD dst_unused:UNUSED_PAD src0_sel:DWORD src1_sel:WORD_1
	v_mul_f16_sdwa v11, v25, v9 dst_sel:DWORD dst_unused:UNUSED_PAD src0_sel:DWORD src1_sel:WORD_1
	;; [unrolled: 1-line block ×4, first 2 shown]
	v_fma_f16 v10, v21, v8, -v10
	v_fma_f16 v11, v26, v9, -v11
	v_fmac_f16_e32 v12, v7, v8
	v_fmac_f16_e32 v13, v25, v9
	v_add_f16_e32 v14, v24, v10
	v_add_f16_e32 v7, v10, v11
	v_sub_f16_e32 v10, v10, v11
	v_add_f16_e32 v9, v12, v13
	v_sub_f16_e32 v8, v12, v13
	v_add_f16_e32 v12, v6, v12
	v_fma_f16 v7, -0.5, v7, v24
	v_fma_f16 v6, -0.5, v9, v6
	v_add_f16_e32 v9, v14, v11
	v_add_f16_e32 v11, v12, v13
	v_fmamk_f16 v12, v8, 0xbaee, v7
	v_fmac_f16_e32 v7, 0x3aee, v8
	v_fmamk_f16 v8, v10, 0x3aee, v6
	v_fmac_f16_e32 v6, 0xbaee, v10
	v_pack_b32_f16 v9, v11, v9
	v_pack_b32_f16 v6, v6, v7
	;; [unrolled: 1-line block ×3, first 2 shown]
	ds_write2_b32 v20, v9, v6 offset0:99 offset1:209
	ds_write_b32 v20, v7 offset:1276
.LBB0_18:
	s_or_b32 exec_lo, exec_lo, s1
	s_waitcnt lgkmcnt(0)
	s_barrier
	buffer_gl0_inv
	ds_read_b32 v12, v18
	v_sub_nc_u32_e32 v8, v0, v19
	s_mov_b32 s1, exec_lo
                                        ; implicit-def: $vgpr10
                                        ; implicit-def: $vgpr9
                                        ; implicit-def: $vgpr11
                                        ; implicit-def: $vgpr6_vgpr7
	v_cmpx_ne_u32_e32 0, v5
	s_xor_b32 s1, exec_lo, s1
	s_cbranch_execz .LBB0_20
; %bb.19:
	v_mov_b32_e32 v6, 0
	v_lshlrev_b64 v[9:10], 2, v[5:6]
	v_add_co_u32 v9, s0, s12, v9
	v_add_co_ci_u32_e64 v10, s0, s13, v10, s0
	global_load_dword v7, v[9:10], off offset:1276
	ds_read_b32 v9, v8 offset:1320
	s_waitcnt lgkmcnt(0)
	v_pk_add_f16 v10, v12, v9 neg_lo:[0,1] neg_hi:[0,1]
	v_pk_add_f16 v9, v9, v12
	v_bfi_b32 v11, 0xffff, v10, v9
	v_bfi_b32 v9, 0xffff, v9, v10
	v_pk_mul_f16 v11, v11, 0.5 op_sel_hi:[1,0]
	v_pk_mul_f16 v12, v9, 0.5 op_sel_hi:[1,0]
	s_waitcnt vmcnt(0)
	v_pk_mul_f16 v10, v7, v11 op_sel:[1,0]
	v_pk_mul_f16 v7, v7, v11 op_sel_hi:[0,1]
	v_pk_fma_f16 v9, v9, 0.5, v10 op_sel_hi:[1,0,1]
	v_sub_f16_e32 v11, v12, v10
	v_sub_f16_sdwa v10, v10, v12 dst_sel:DWORD dst_unused:UNUSED_PAD src0_sel:WORD_1 src1_sel:WORD_1
	v_pk_add_f16 v12, v9, v7 op_sel:[0,1] op_sel_hi:[1,0]
	v_pk_add_f16 v13, v9, v7 op_sel:[0,1] op_sel_hi:[1,0] neg_lo:[0,1] neg_hi:[0,1]
	v_sub_f16_sdwa v9, v11, v7 dst_sel:DWORD dst_unused:UNUSED_PAD src0_sel:DWORD src1_sel:WORD_1
	v_sub_f16_e32 v11, v10, v7
	v_mov_b32_e32 v7, v6
	v_mov_b32_e32 v6, v5
	v_bfi_b32 v10, 0xffff, v12, v13
                                        ; implicit-def: $vgpr12
.LBB0_20:
	s_andn2_saveexec_b32 s0, s1
	s_cbranch_execz .LBB0_22
; %bb.21:
	ds_read_u16 v6, v0 offset:662
	s_waitcnt lgkmcnt(1)
	v_alignbit_b32 v7, s0, v12, 16
	v_sub_f16_sdwa v9, v12, v12 dst_sel:DWORD dst_unused:UNUSED_PAD src0_sel:DWORD src1_sel:WORD_1
	v_mov_b32_e32 v11, 0
	v_pk_add_f16 v7, v7, v12
	v_pack_b32_f16 v10, v7, 0
	s_waitcnt lgkmcnt(0)
	v_xor_b32_e32 v12, 0x8000, v6
	v_mov_b32_e32 v6, 0
	v_mov_b32_e32 v7, 0
	ds_write_b16 v0, v12 offset:662
.LBB0_22:
	s_or_b32 exec_lo, exec_lo, s0
	v_lshlrev_b64 v[6:7], 2, v[6:7]
	s_add_u32 s0, s12, 0x4fc
	s_addc_u32 s1, s13, 0
	v_add_co_u32 v6, s0, s0, v6
	v_add_co_ci_u32_e64 v7, s0, s1, v7, s0
	s_waitcnt lgkmcnt(0)
	s_clause 0x3
	global_load_dword v12, v[6:7], off offset:132
	global_load_dword v13, v[6:7], off offset:264
	;; [unrolled: 1-line block ×4, first 2 shown]
	ds_write_b16 v8, v11 offset:1322
	ds_write_b32 v18, v10
	ds_write_b16 v8, v9 offset:1320
	ds_read_b32 v7, v18 offset:132
	ds_read_b32 v9, v8 offset:1188
	s_waitcnt lgkmcnt(0)
	v_pk_add_f16 v10, v7, v9 neg_lo:[0,1] neg_hi:[0,1]
	v_pk_add_f16 v7, v7, v9
	v_bfi_b32 v9, 0xffff, v10, v7
	v_bfi_b32 v7, 0xffff, v7, v10
	v_pk_mul_f16 v9, v9, 0.5 op_sel_hi:[1,0]
	v_pk_mul_f16 v7, v7, 0.5 op_sel_hi:[1,0]
	s_waitcnt vmcnt(3)
	v_pk_fma_f16 v10, v12, v9, v7 op_sel:[1,0,0]
	v_pk_mul_f16 v11, v12, v9 op_sel_hi:[0,1]
	v_pk_fma_f16 v15, v12, v9, v7 op_sel:[1,0,0] neg_lo:[1,0,0] neg_hi:[1,0,0]
	v_pk_fma_f16 v7, v12, v9, v7 op_sel:[1,0,0] neg_lo:[0,0,1] neg_hi:[0,0,1]
	v_pk_add_f16 v9, v10, v11 op_sel:[0,1] op_sel_hi:[1,0]
	v_pk_add_f16 v10, v10, v11 op_sel:[0,1] op_sel_hi:[1,0] neg_lo:[0,1] neg_hi:[0,1]
	v_pk_add_f16 v12, v15, v11 op_sel:[0,1] op_sel_hi:[1,0] neg_lo:[0,1] neg_hi:[0,1]
	v_pk_add_f16 v7, v7, v11 op_sel:[0,1] op_sel_hi:[1,0] neg_lo:[0,1] neg_hi:[0,1]
	v_bfi_b32 v9, 0xffff, v9, v10
	v_bfi_b32 v7, 0xffff, v12, v7
	ds_write_b32 v18, v9 offset:132
	ds_write_b32 v8, v7 offset:1188
	ds_read_b32 v7, v18 offset:264
	ds_read_b32 v9, v8 offset:1056
	s_waitcnt lgkmcnt(0)
	v_pk_add_f16 v10, v7, v9 neg_lo:[0,1] neg_hi:[0,1]
	v_pk_add_f16 v7, v7, v9
	v_bfi_b32 v9, 0xffff, v10, v7
	v_bfi_b32 v7, 0xffff, v7, v10
	v_pk_mul_f16 v9, v9, 0.5 op_sel_hi:[1,0]
	v_pk_mul_f16 v7, v7, 0.5 op_sel_hi:[1,0]
	s_waitcnt vmcnt(2)
	v_pk_mul_f16 v11, v13, v9 op_sel_hi:[0,1]
	v_pk_fma_f16 v10, v13, v9, v7 op_sel:[1,0,0]
	v_pk_fma_f16 v12, v13, v9, v7 op_sel:[1,0,0] neg_lo:[1,0,0] neg_hi:[1,0,0]
	v_pk_fma_f16 v7, v13, v9, v7 op_sel:[1,0,0] neg_lo:[0,0,1] neg_hi:[0,0,1]
	v_pk_add_f16 v9, v10, v11 op_sel:[0,1] op_sel_hi:[1,0]
	v_pk_add_f16 v10, v10, v11 op_sel:[0,1] op_sel_hi:[1,0] neg_lo:[0,1] neg_hi:[0,1]
	v_pk_add_f16 v12, v12, v11 op_sel:[0,1] op_sel_hi:[1,0] neg_lo:[0,1] neg_hi:[0,1]
	v_pk_add_f16 v7, v7, v11 op_sel:[0,1] op_sel_hi:[1,0] neg_lo:[0,1] neg_hi:[0,1]
	v_bfi_b32 v9, 0xffff, v9, v10
	v_bfi_b32 v7, 0xffff, v12, v7
	ds_write_b32 v18, v9 offset:264
	ds_write_b32 v8, v7 offset:1056
	ds_read_b32 v7, v18 offset:396
	ds_read_b32 v9, v8 offset:924
	s_waitcnt lgkmcnt(0)
	v_pk_add_f16 v10, v7, v9 neg_lo:[0,1] neg_hi:[0,1]
	v_pk_add_f16 v7, v7, v9
	v_bfi_b32 v9, 0xffff, v10, v7
	v_bfi_b32 v7, 0xffff, v7, v10
	v_pk_mul_f16 v9, v9, 0.5 op_sel_hi:[1,0]
	v_pk_mul_f16 v7, v7, 0.5 op_sel_hi:[1,0]
	s_waitcnt vmcnt(1)
	v_pk_mul_f16 v11, v14, v9 op_sel_hi:[0,1]
	v_pk_fma_f16 v10, v14, v9, v7 op_sel:[1,0,0]
	;; [unrolled: 22-line block ×3, first 2 shown]
	v_pk_fma_f16 v12, v6, v9, v7 op_sel:[1,0,0] neg_lo:[1,0,0] neg_hi:[1,0,0]
	v_pk_fma_f16 v6, v6, v9, v7 op_sel:[1,0,0] neg_lo:[0,0,1] neg_hi:[0,0,1]
	v_pk_add_f16 v7, v10, v11 op_sel:[0,1] op_sel_hi:[1,0]
	v_pk_add_f16 v9, v10, v11 op_sel:[0,1] op_sel_hi:[1,0] neg_lo:[0,1] neg_hi:[0,1]
	v_pk_add_f16 v10, v12, v11 op_sel:[0,1] op_sel_hi:[1,0] neg_lo:[0,1] neg_hi:[0,1]
	;; [unrolled: 1-line block ×3, first 2 shown]
	v_bfi_b32 v7, 0xffff, v7, v9
	v_bfi_b32 v6, 0xffff, v10, v6
	ds_write_b32 v18, v7 offset:528
	ds_write_b32 v8, v6 offset:792
	s_waitcnt lgkmcnt(0)
	s_barrier
	buffer_gl0_inv
	s_and_saveexec_b32 s0, vcc_lo
	s_cbranch_execz .LBB0_25
; %bb.23:
	v_mul_lo_u32 v9, s3, v3
	v_mul_lo_u32 v4, s2, v4
	v_mad_u64_u32 v[7:8], null, s2, v3, 0
	v_lshl_add_u32 v3, v5, 2, v0
	v_mov_b32_e32 v6, 0
	v_lshlrev_b64 v[0:1], 2, v[1:2]
	v_add_nc_u32_e32 v11, 0x42, v5
	ds_read2_b32 v[13:14], v3 offset1:33
	v_add3_u32 v8, v8, v4, v9
	v_add_nc_u32_e32 v9, 33, v5
	v_mov_b32_e32 v10, v6
	ds_read2_b32 v[17:18], v3 offset0:66 offset1:99
	v_lshlrev_b64 v[15:16], 2, v[5:6]
	v_lshlrev_b64 v[7:8], 2, v[7:8]
	v_mov_b32_e32 v12, v6
	v_add_co_u32 v2, vcc_lo, s10, v7
	v_add_co_ci_u32_e32 v4, vcc_lo, s11, v8, vcc_lo
	v_lshlrev_b64 v[7:8], 2, v[9:10]
	v_add_co_u32 v0, vcc_lo, v2, v0
	v_add_co_ci_u32_e32 v1, vcc_lo, v4, v1, vcc_lo
	v_lshlrev_b64 v[9:10], 2, v[11:12]
	v_add_co_u32 v11, vcc_lo, v0, v15
	v_add_co_ci_u32_e32 v12, vcc_lo, v1, v16, vcc_lo
	v_add_co_u32 v7, vcc_lo, v0, v7
	v_add_co_ci_u32_e32 v8, vcc_lo, v1, v8, vcc_lo
	v_add_co_u32 v9, vcc_lo, v0, v9
	v_add_co_ci_u32_e32 v10, vcc_lo, v1, v10, vcc_lo
	s_waitcnt lgkmcnt(1)
	global_store_dword v[11:12], v13, off
	v_add_nc_u32_e32 v11, 0x63, v5
	v_mov_b32_e32 v12, v6
	global_store_dword v[7:8], v14, off
	s_waitcnt lgkmcnt(0)
	global_store_dword v[9:10], v17, off
	v_add_nc_u32_e32 v15, 0x84, v5
	v_mov_b32_e32 v16, v6
	ds_read2_b32 v[9:10], v3 offset0:132 offset1:165
	v_lshlrev_b64 v[7:8], 2, v[11:12]
	v_add_nc_u32_e32 v13, 0xa5, v5
	v_mov_b32_e32 v14, v6
	v_lshlrev_b64 v[11:12], 2, v[15:16]
	v_add_nc_u32_e32 v15, 0xc6, v5
	v_add_nc_u32_e32 v2, 0x400, v3
	v_add_co_u32 v7, vcc_lo, v0, v7
	v_lshlrev_b64 v[13:14], 2, v[13:14]
	v_add_co_ci_u32_e32 v8, vcc_lo, v1, v8, vcc_lo
	v_add_co_u32 v11, vcc_lo, v0, v11
	v_add_co_ci_u32_e32 v12, vcc_lo, v1, v12, vcc_lo
	v_add_co_u32 v13, vcc_lo, v0, v13
	v_add_co_ci_u32_e32 v14, vcc_lo, v1, v14, vcc_lo
	global_store_dword v[7:8], v18, off
	s_waitcnt lgkmcnt(0)
	global_store_dword v[11:12], v9, off
	global_store_dword v[13:14], v10, off
	v_add_nc_u32_e32 v11, 0xe7, v5
	v_mov_b32_e32 v12, v6
	v_lshlrev_b64 v[9:10], 2, v[15:16]
	v_add_nc_u32_e32 v13, 0x108, v5
	v_mov_b32_e32 v14, v6
	ds_read2_b32 v[7:8], v3 offset0:198 offset1:231
	v_lshlrev_b64 v[11:12], 2, v[11:12]
	v_add_nc_u32_e32 v17, 0x129, v5
	v_mov_b32_e32 v18, v6
	ds_read2_b32 v[15:16], v2 offset0:8 offset1:41
	v_add_co_u32 v9, vcc_lo, v0, v9
	v_lshlrev_b64 v[13:14], 2, v[13:14]
	v_add_co_ci_u32_e32 v10, vcc_lo, v1, v10, vcc_lo
	v_add_co_u32 v11, vcc_lo, v0, v11
	v_lshlrev_b64 v[17:18], 2, v[17:18]
	v_add_co_ci_u32_e32 v12, vcc_lo, v1, v12, vcc_lo
	v_add_co_u32 v13, vcc_lo, v0, v13
	v_add_co_ci_u32_e32 v14, vcc_lo, v1, v14, vcc_lo
	v_add_co_u32 v17, vcc_lo, v0, v17
	v_add_co_ci_u32_e32 v18, vcc_lo, v1, v18, vcc_lo
	v_cmp_eq_u32_e32 vcc_lo, 32, v5
	s_waitcnt lgkmcnt(1)
	global_store_dword v[9:10], v7, off
	global_store_dword v[11:12], v8, off
	s_waitcnt lgkmcnt(0)
	global_store_dword v[13:14], v15, off
	global_store_dword v[17:18], v16, off
	s_and_b32 exec_lo, exec_lo, vcc_lo
	s_cbranch_execz .LBB0_25
; %bb.24:
	ds_read_b32 v2, v3 offset:1192
	s_waitcnt lgkmcnt(0)
	global_store_dword v[0:1], v2, off offset:1320
.LBB0_25:
	s_endpgm
	.section	.rodata,"a",@progbits
	.p2align	6, 0x0
	.amdhsa_kernel fft_rtc_back_len330_factors_11_10_3_wgs_99_tpt_33_half_op_CI_CI_unitstride_sbrr_R2C_dirReg
		.amdhsa_group_segment_fixed_size 0
		.amdhsa_private_segment_fixed_size 0
		.amdhsa_kernarg_size 104
		.amdhsa_user_sgpr_count 6
		.amdhsa_user_sgpr_private_segment_buffer 1
		.amdhsa_user_sgpr_dispatch_ptr 0
		.amdhsa_user_sgpr_queue_ptr 0
		.amdhsa_user_sgpr_kernarg_segment_ptr 1
		.amdhsa_user_sgpr_dispatch_id 0
		.amdhsa_user_sgpr_flat_scratch_init 0
		.amdhsa_user_sgpr_private_segment_size 0
		.amdhsa_wavefront_size32 1
		.amdhsa_uses_dynamic_stack 0
		.amdhsa_system_sgpr_private_segment_wavefront_offset 0
		.amdhsa_system_sgpr_workgroup_id_x 1
		.amdhsa_system_sgpr_workgroup_id_y 0
		.amdhsa_system_sgpr_workgroup_id_z 0
		.amdhsa_system_sgpr_workgroup_info 0
		.amdhsa_system_vgpr_workitem_id 0
		.amdhsa_next_free_vgpr 85
		.amdhsa_next_free_sgpr 27
		.amdhsa_reserve_vcc 1
		.amdhsa_reserve_flat_scratch 0
		.amdhsa_float_round_mode_32 0
		.amdhsa_float_round_mode_16_64 0
		.amdhsa_float_denorm_mode_32 3
		.amdhsa_float_denorm_mode_16_64 3
		.amdhsa_dx10_clamp 1
		.amdhsa_ieee_mode 1
		.amdhsa_fp16_overflow 0
		.amdhsa_workgroup_processor_mode 1
		.amdhsa_memory_ordered 1
		.amdhsa_forward_progress 0
		.amdhsa_shared_vgpr_count 0
		.amdhsa_exception_fp_ieee_invalid_op 0
		.amdhsa_exception_fp_denorm_src 0
		.amdhsa_exception_fp_ieee_div_zero 0
		.amdhsa_exception_fp_ieee_overflow 0
		.amdhsa_exception_fp_ieee_underflow 0
		.amdhsa_exception_fp_ieee_inexact 0
		.amdhsa_exception_int_div_zero 0
	.end_amdhsa_kernel
	.text
.Lfunc_end0:
	.size	fft_rtc_back_len330_factors_11_10_3_wgs_99_tpt_33_half_op_CI_CI_unitstride_sbrr_R2C_dirReg, .Lfunc_end0-fft_rtc_back_len330_factors_11_10_3_wgs_99_tpt_33_half_op_CI_CI_unitstride_sbrr_R2C_dirReg
                                        ; -- End function
	.section	.AMDGPU.csdata,"",@progbits
; Kernel info:
; codeLenInByte = 8152
; NumSgprs: 29
; NumVgprs: 85
; ScratchSize: 0
; MemoryBound: 0
; FloatMode: 240
; IeeeMode: 1
; LDSByteSize: 0 bytes/workgroup (compile time only)
; SGPRBlocks: 3
; VGPRBlocks: 10
; NumSGPRsForWavesPerEU: 29
; NumVGPRsForWavesPerEU: 85
; Occupancy: 10
; WaveLimiterHint : 1
; COMPUTE_PGM_RSRC2:SCRATCH_EN: 0
; COMPUTE_PGM_RSRC2:USER_SGPR: 6
; COMPUTE_PGM_RSRC2:TRAP_HANDLER: 0
; COMPUTE_PGM_RSRC2:TGID_X_EN: 1
; COMPUTE_PGM_RSRC2:TGID_Y_EN: 0
; COMPUTE_PGM_RSRC2:TGID_Z_EN: 0
; COMPUTE_PGM_RSRC2:TIDIG_COMP_CNT: 0
	.text
	.p2alignl 6, 3214868480
	.fill 48, 4, 3214868480
	.type	__hip_cuid_6bceeb9f73871d9,@object ; @__hip_cuid_6bceeb9f73871d9
	.section	.bss,"aw",@nobits
	.globl	__hip_cuid_6bceeb9f73871d9
__hip_cuid_6bceeb9f73871d9:
	.byte	0                               ; 0x0
	.size	__hip_cuid_6bceeb9f73871d9, 1

	.ident	"AMD clang version 19.0.0git (https://github.com/RadeonOpenCompute/llvm-project roc-6.4.0 25133 c7fe45cf4b819c5991fe208aaa96edf142730f1d)"
	.section	".note.GNU-stack","",@progbits
	.addrsig
	.addrsig_sym __hip_cuid_6bceeb9f73871d9
	.amdgpu_metadata
---
amdhsa.kernels:
  - .args:
      - .actual_access:  read_only
        .address_space:  global
        .offset:         0
        .size:           8
        .value_kind:     global_buffer
      - .offset:         8
        .size:           8
        .value_kind:     by_value
      - .actual_access:  read_only
        .address_space:  global
        .offset:         16
        .size:           8
        .value_kind:     global_buffer
      - .actual_access:  read_only
        .address_space:  global
        .offset:         24
        .size:           8
        .value_kind:     global_buffer
      - .actual_access:  read_only
        .address_space:  global
        .offset:         32
        .size:           8
        .value_kind:     global_buffer
      - .offset:         40
        .size:           8
        .value_kind:     by_value
      - .actual_access:  read_only
        .address_space:  global
        .offset:         48
        .size:           8
        .value_kind:     global_buffer
      - .actual_access:  read_only
        .address_space:  global
        .offset:         56
        .size:           8
        .value_kind:     global_buffer
      - .offset:         64
        .size:           4
        .value_kind:     by_value
      - .actual_access:  read_only
        .address_space:  global
        .offset:         72
        .size:           8
        .value_kind:     global_buffer
      - .actual_access:  read_only
        .address_space:  global
        .offset:         80
        .size:           8
        .value_kind:     global_buffer
      - .actual_access:  read_only
        .address_space:  global
        .offset:         88
        .size:           8
        .value_kind:     global_buffer
      - .actual_access:  write_only
        .address_space:  global
        .offset:         96
        .size:           8
        .value_kind:     global_buffer
    .group_segment_fixed_size: 0
    .kernarg_segment_align: 8
    .kernarg_segment_size: 104
    .language:       OpenCL C
    .language_version:
      - 2
      - 0
    .max_flat_workgroup_size: 99
    .name:           fft_rtc_back_len330_factors_11_10_3_wgs_99_tpt_33_half_op_CI_CI_unitstride_sbrr_R2C_dirReg
    .private_segment_fixed_size: 0
    .sgpr_count:     29
    .sgpr_spill_count: 0
    .symbol:         fft_rtc_back_len330_factors_11_10_3_wgs_99_tpt_33_half_op_CI_CI_unitstride_sbrr_R2C_dirReg.kd
    .uniform_work_group_size: 1
    .uses_dynamic_stack: false
    .vgpr_count:     85
    .vgpr_spill_count: 0
    .wavefront_size: 32
    .workgroup_processor_mode: 1
amdhsa.target:   amdgcn-amd-amdhsa--gfx1030
amdhsa.version:
  - 1
  - 2
...

	.end_amdgpu_metadata
